;; amdgpu-corpus repo=ROCm/rocFFT kind=compiled arch=gfx1030 opt=O3
	.text
	.amdgcn_target "amdgcn-amd-amdhsa--gfx1030"
	.amdhsa_code_object_version 6
	.protected	fft_rtc_fwd_len1694_factors_11_2_11_7_wgs_154_tpt_154_halfLds_dp_ip_CI_unitstride_sbrr_dirReg ; -- Begin function fft_rtc_fwd_len1694_factors_11_2_11_7_wgs_154_tpt_154_halfLds_dp_ip_CI_unitstride_sbrr_dirReg
	.globl	fft_rtc_fwd_len1694_factors_11_2_11_7_wgs_154_tpt_154_halfLds_dp_ip_CI_unitstride_sbrr_dirReg
	.p2align	8
	.type	fft_rtc_fwd_len1694_factors_11_2_11_7_wgs_154_tpt_154_halfLds_dp_ip_CI_unitstride_sbrr_dirReg,@function
fft_rtc_fwd_len1694_factors_11_2_11_7_wgs_154_tpt_154_halfLds_dp_ip_CI_unitstride_sbrr_dirReg: ; @fft_rtc_fwd_len1694_factors_11_2_11_7_wgs_154_tpt_154_halfLds_dp_ip_CI_unitstride_sbrr_dirReg
; %bb.0:
	s_clause 0x2
	s_load_dwordx4 s[8:11], s[4:5], 0x0
	s_load_dwordx2 s[2:3], s[4:5], 0x50
	s_load_dwordx2 s[12:13], s[4:5], 0x18
	v_mul_u32_u24_e32 v1, 0x1aa, v0
	v_mov_b32_e32 v3, 0
	v_add_nc_u32_sdwa v5, s6, v1 dst_sel:DWORD dst_unused:UNUSED_PAD src0_sel:DWORD src1_sel:WORD_1
	v_mov_b32_e32 v1, 0
	v_mov_b32_e32 v6, v3
	v_mov_b32_e32 v2, 0
	s_waitcnt lgkmcnt(0)
	v_cmp_lt_u64_e64 s0, s[10:11], 2
	s_and_b32 vcc_lo, exec_lo, s0
	s_cbranch_vccnz .LBB0_8
; %bb.1:
	s_load_dwordx2 s[0:1], s[4:5], 0x10
	v_mov_b32_e32 v1, 0
	s_add_u32 s6, s12, 8
	v_mov_b32_e32 v2, 0
	s_addc_u32 s7, s13, 0
	s_mov_b64 s[16:17], 1
	s_waitcnt lgkmcnt(0)
	s_add_u32 s14, s0, 8
	s_addc_u32 s15, s1, 0
.LBB0_2:                                ; =>This Inner Loop Header: Depth=1
	s_load_dwordx2 s[18:19], s[14:15], 0x0
                                        ; implicit-def: $vgpr7_vgpr8
	s_mov_b32 s0, exec_lo
	s_waitcnt lgkmcnt(0)
	v_or_b32_e32 v4, s19, v6
	v_cmpx_ne_u64_e32 0, v[3:4]
	s_xor_b32 s1, exec_lo, s0
	s_cbranch_execz .LBB0_4
; %bb.3:                                ;   in Loop: Header=BB0_2 Depth=1
	v_cvt_f32_u32_e32 v4, s18
	v_cvt_f32_u32_e32 v7, s19
	s_sub_u32 s0, 0, s18
	s_subb_u32 s20, 0, s19
	v_fmac_f32_e32 v4, 0x4f800000, v7
	v_rcp_f32_e32 v4, v4
	v_mul_f32_e32 v4, 0x5f7ffffc, v4
	v_mul_f32_e32 v7, 0x2f800000, v4
	v_trunc_f32_e32 v7, v7
	v_fmac_f32_e32 v4, 0xcf800000, v7
	v_cvt_u32_f32_e32 v7, v7
	v_cvt_u32_f32_e32 v4, v4
	v_mul_lo_u32 v8, s0, v7
	v_mul_hi_u32 v9, s0, v4
	v_mul_lo_u32 v10, s20, v4
	v_add_nc_u32_e32 v8, v9, v8
	v_mul_lo_u32 v9, s0, v4
	v_add_nc_u32_e32 v8, v8, v10
	v_mul_hi_u32 v10, v4, v9
	v_mul_lo_u32 v11, v4, v8
	v_mul_hi_u32 v12, v4, v8
	v_mul_hi_u32 v13, v7, v9
	v_mul_lo_u32 v9, v7, v9
	v_mul_hi_u32 v14, v7, v8
	v_mul_lo_u32 v8, v7, v8
	v_add_co_u32 v10, vcc_lo, v10, v11
	v_add_co_ci_u32_e32 v11, vcc_lo, 0, v12, vcc_lo
	v_add_co_u32 v9, vcc_lo, v10, v9
	v_add_co_ci_u32_e32 v9, vcc_lo, v11, v13, vcc_lo
	v_add_co_ci_u32_e32 v10, vcc_lo, 0, v14, vcc_lo
	v_add_co_u32 v8, vcc_lo, v9, v8
	v_add_co_ci_u32_e32 v9, vcc_lo, 0, v10, vcc_lo
	v_add_co_u32 v4, vcc_lo, v4, v8
	v_add_co_ci_u32_e32 v7, vcc_lo, v7, v9, vcc_lo
	v_mul_hi_u32 v8, s0, v4
	v_mul_lo_u32 v10, s20, v4
	v_mul_lo_u32 v9, s0, v7
	v_add_nc_u32_e32 v8, v8, v9
	v_mul_lo_u32 v9, s0, v4
	v_add_nc_u32_e32 v8, v8, v10
	v_mul_hi_u32 v10, v4, v9
	v_mul_lo_u32 v11, v4, v8
	v_mul_hi_u32 v12, v4, v8
	v_mul_hi_u32 v13, v7, v9
	v_mul_lo_u32 v9, v7, v9
	v_mul_hi_u32 v14, v7, v8
	v_mul_lo_u32 v8, v7, v8
	v_add_co_u32 v10, vcc_lo, v10, v11
	v_add_co_ci_u32_e32 v11, vcc_lo, 0, v12, vcc_lo
	v_add_co_u32 v9, vcc_lo, v10, v9
	v_add_co_ci_u32_e32 v9, vcc_lo, v11, v13, vcc_lo
	v_add_co_ci_u32_e32 v10, vcc_lo, 0, v14, vcc_lo
	v_add_co_u32 v8, vcc_lo, v9, v8
	v_add_co_ci_u32_e32 v9, vcc_lo, 0, v10, vcc_lo
	v_add_co_u32 v4, vcc_lo, v4, v8
	v_add_co_ci_u32_e32 v11, vcc_lo, v7, v9, vcc_lo
	v_mul_hi_u32 v13, v5, v4
	v_mad_u64_u32 v[9:10], null, v6, v4, 0
	v_mad_u64_u32 v[7:8], null, v5, v11, 0
	;; [unrolled: 1-line block ×3, first 2 shown]
	v_add_co_u32 v4, vcc_lo, v13, v7
	v_add_co_ci_u32_e32 v7, vcc_lo, 0, v8, vcc_lo
	v_add_co_u32 v4, vcc_lo, v4, v9
	v_add_co_ci_u32_e32 v4, vcc_lo, v7, v10, vcc_lo
	v_add_co_ci_u32_e32 v7, vcc_lo, 0, v12, vcc_lo
	v_add_co_u32 v4, vcc_lo, v4, v11
	v_add_co_ci_u32_e32 v9, vcc_lo, 0, v7, vcc_lo
	v_mul_lo_u32 v10, s19, v4
	v_mad_u64_u32 v[7:8], null, s18, v4, 0
	v_mul_lo_u32 v11, s18, v9
	v_sub_co_u32 v7, vcc_lo, v5, v7
	v_add3_u32 v8, v8, v11, v10
	v_sub_nc_u32_e32 v10, v6, v8
	v_subrev_co_ci_u32_e64 v10, s0, s19, v10, vcc_lo
	v_add_co_u32 v11, s0, v4, 2
	v_add_co_ci_u32_e64 v12, s0, 0, v9, s0
	v_sub_co_u32 v13, s0, v7, s18
	v_sub_co_ci_u32_e32 v8, vcc_lo, v6, v8, vcc_lo
	v_subrev_co_ci_u32_e64 v10, s0, 0, v10, s0
	v_cmp_le_u32_e32 vcc_lo, s18, v13
	v_cmp_eq_u32_e64 s0, s19, v8
	v_cndmask_b32_e64 v13, 0, -1, vcc_lo
	v_cmp_le_u32_e32 vcc_lo, s19, v10
	v_cndmask_b32_e64 v14, 0, -1, vcc_lo
	v_cmp_le_u32_e32 vcc_lo, s18, v7
	;; [unrolled: 2-line block ×3, first 2 shown]
	v_cndmask_b32_e64 v15, 0, -1, vcc_lo
	v_cmp_eq_u32_e32 vcc_lo, s19, v10
	v_cndmask_b32_e64 v7, v15, v7, s0
	v_cndmask_b32_e32 v10, v14, v13, vcc_lo
	v_add_co_u32 v13, vcc_lo, v4, 1
	v_add_co_ci_u32_e32 v14, vcc_lo, 0, v9, vcc_lo
	v_cmp_ne_u32_e32 vcc_lo, 0, v10
	v_cndmask_b32_e32 v8, v14, v12, vcc_lo
	v_cndmask_b32_e32 v10, v13, v11, vcc_lo
	v_cmp_ne_u32_e32 vcc_lo, 0, v7
	v_cndmask_b32_e32 v8, v9, v8, vcc_lo
	v_cndmask_b32_e32 v7, v4, v10, vcc_lo
.LBB0_4:                                ;   in Loop: Header=BB0_2 Depth=1
	s_andn2_saveexec_b32 s0, s1
	s_cbranch_execz .LBB0_6
; %bb.5:                                ;   in Loop: Header=BB0_2 Depth=1
	v_cvt_f32_u32_e32 v4, s18
	s_sub_i32 s1, 0, s18
	v_rcp_iflag_f32_e32 v4, v4
	v_mul_f32_e32 v4, 0x4f7ffffe, v4
	v_cvt_u32_f32_e32 v4, v4
	v_mul_lo_u32 v7, s1, v4
	v_mul_hi_u32 v7, v4, v7
	v_add_nc_u32_e32 v4, v4, v7
	v_mul_hi_u32 v4, v5, v4
	v_mul_lo_u32 v7, v4, s18
	v_add_nc_u32_e32 v8, 1, v4
	v_sub_nc_u32_e32 v7, v5, v7
	v_subrev_nc_u32_e32 v9, s18, v7
	v_cmp_le_u32_e32 vcc_lo, s18, v7
	v_cndmask_b32_e32 v7, v7, v9, vcc_lo
	v_cndmask_b32_e32 v4, v4, v8, vcc_lo
	v_cmp_le_u32_e32 vcc_lo, s18, v7
	v_add_nc_u32_e32 v8, 1, v4
	v_cndmask_b32_e32 v7, v4, v8, vcc_lo
	v_mov_b32_e32 v8, v3
.LBB0_6:                                ;   in Loop: Header=BB0_2 Depth=1
	s_or_b32 exec_lo, exec_lo, s0
	s_load_dwordx2 s[0:1], s[6:7], 0x0
	v_mul_lo_u32 v4, v8, s18
	v_mul_lo_u32 v11, v7, s19
	v_mad_u64_u32 v[9:10], null, v7, s18, 0
	s_add_u32 s16, s16, 1
	s_addc_u32 s17, s17, 0
	s_add_u32 s6, s6, 8
	s_addc_u32 s7, s7, 0
	;; [unrolled: 2-line block ×3, first 2 shown]
	v_add3_u32 v4, v10, v11, v4
	v_sub_co_u32 v5, vcc_lo, v5, v9
	v_sub_co_ci_u32_e32 v4, vcc_lo, v6, v4, vcc_lo
	s_waitcnt lgkmcnt(0)
	v_mul_lo_u32 v6, s1, v5
	v_mul_lo_u32 v4, s0, v4
	v_mad_u64_u32 v[1:2], null, s0, v5, v[1:2]
	v_cmp_ge_u64_e64 s0, s[16:17], s[10:11]
	s_and_b32 vcc_lo, exec_lo, s0
	v_add3_u32 v2, v6, v2, v4
	s_cbranch_vccnz .LBB0_9
; %bb.7:                                ;   in Loop: Header=BB0_2 Depth=1
	v_mov_b32_e32 v5, v7
	v_mov_b32_e32 v6, v8
	s_branch .LBB0_2
.LBB0_8:
	v_mov_b32_e32 v8, v6
	v_mov_b32_e32 v7, v5
.LBB0_9:
	s_lshl_b64 s[0:1], s[10:11], 3
	v_mul_hi_u32 v5, 0x1a98ef7, v0
	s_add_u32 s0, s12, s0
	s_addc_u32 s1, s13, s1
                                        ; implicit-def: $vgpr14_vgpr15
                                        ; implicit-def: $vgpr22_vgpr23
                                        ; implicit-def: $vgpr30_vgpr31
                                        ; implicit-def: $vgpr18_vgpr19
                                        ; implicit-def: $vgpr26_vgpr27
                                        ; implicit-def: $vgpr34_vgpr35
                                        ; implicit-def: $vgpr38_vgpr39
                                        ; implicit-def: $vgpr42_vgpr43
                                        ; implicit-def: $vgpr10_vgpr11
	s_load_dwordx2 s[0:1], s[0:1], 0x0
	s_load_dwordx2 s[4:5], s[4:5], 0x20
	s_waitcnt lgkmcnt(0)
	v_mul_lo_u32 v3, s0, v8
	v_mul_lo_u32 v4, s1, v7
	v_mad_u64_u32 v[1:2], null, s0, v7, v[1:2]
	v_cmp_gt_u64_e32 vcc_lo, s[4:5], v[7:8]
                                        ; implicit-def: $vgpr6_vgpr7
	v_add3_u32 v2, v4, v2, v3
	v_mul_u32_u24_e32 v3, 0x9a, v5
	v_lshlrev_b64 v[70:71], 4, v[1:2]
	v_sub_nc_u32_e32 v68, v0, v3
                                        ; implicit-def: $vgpr2_vgpr3
	s_and_saveexec_b32 s1, vcc_lo
	s_cbranch_execz .LBB0_11
; %bb.10:
	v_mov_b32_e32 v69, 0
	v_add_co_u32 v2, s0, s2, v70
	v_add_co_ci_u32_e64 v3, s0, s3, v71, s0
	v_lshlrev_b64 v[0:1], 4, v[68:69]
	v_add_co_u32 v0, s0, v2, v0
	v_add_co_ci_u32_e64 v1, s0, v3, v1, s0
	v_add_co_u32 v2, s0, 0x800, v0
	v_add_co_ci_u32_e64 v3, s0, 0, v1, s0
	;; [unrolled: 2-line block ×6, first 2 shown]
	s_clause 0x5
	global_load_dwordx4 v[8:11], v[0:1], off
	global_load_dwordx4 v[40:43], v[2:3], off offset:416
	global_load_dwordx4 v[36:39], v[4:5], off offset:832
	;; [unrolled: 1-line block ×5, first 2 shown]
	v_add_co_u32 v2, s0, 0x3800, v0
	v_add_co_ci_u32_e64 v3, s0, 0, v1, s0
	v_add_co_u32 v4, s0, 0x4000, v0
	v_add_co_ci_u32_e64 v5, s0, 0, v1, s0
	v_add_co_u32 v6, s0, 0x4800, v0
	v_add_co_ci_u32_e64 v7, s0, 0, v1, s0
	v_add_co_u32 v44, s0, 0x5000, v0
	v_add_co_ci_u32_e64 v45, s0, 0, v1, s0
	v_add_co_u32 v0, s0, 0x6000, v0
	v_add_co_ci_u32_e64 v1, s0, 0, v1, s0
	s_clause 0x4
	global_load_dwordx4 v[28:31], v[2:3], off offset:448
	global_load_dwordx4 v[20:23], v[4:5], off offset:864
	;; [unrolled: 1-line block ×5, first 2 shown]
.LBB0_11:
	s_or_b32 exec_lo, exec_lo, s1
	s_waitcnt vmcnt(9)
	v_add_f64 v[44:45], v[40:41], v[8:9]
	s_waitcnt vmcnt(0)
	v_add_f64 v[46:47], v[0:1], v[40:41]
	s_mov_b32 s4, 0xd9c712b6
	s_mov_b32 s6, 0x640f44db
	s_mov_b32 s5, 0x3fda9628
	s_mov_b32 s10, 0x7f775887
	s_mov_b32 s7, 0xbfc2375f
	s_mov_b32 s12, 0x9bcd5057
	s_mov_b32 s11, 0xbfe4f49e
	s_mov_b32 s13, 0xbfeeb42a
	v_add_f64 v[48:49], v[42:43], -v[2:3]
	v_add_f64 v[50:51], v[4:5], v[36:37]
	s_mov_b32 s14, 0x8764f0ba
	s_mov_b32 s15, 0x3feaeb8c
	;; [unrolled: 1-line block ×10, first 2 shown]
	v_add_f64 v[44:45], v[36:37], v[44:45]
	v_mul_f64 v[66:67], v[46:47], s[4:5]
	v_mul_f64 v[74:75], v[46:47], s[6:7]
	;; [unrolled: 1-line block ×5, first 2 shown]
	v_add_f64 v[52:53], v[38:39], -v[6:7]
	s_mov_b32 s23, 0xbfd207e7
	v_add_f64 v[54:55], v[12:13], v[32:33]
	s_mov_b32 s26, 0xf8bb580b
	s_mov_b32 s21, 0xbfe82f19
	;; [unrolled: 1-line block ×4, first 2 shown]
	v_mul_f64 v[72:73], v[50:51], s[10:11]
	v_mul_f64 v[80:81], v[50:51], s[12:13]
	;; [unrolled: 1-line block ×5, first 2 shown]
	s_mov_b32 s35, 0xbfed1bb4
	s_mov_b32 s17, 0xbfefac9e
	;; [unrolled: 1-line block ×4, first 2 shown]
	v_add_f64 v[44:45], v[32:33], v[44:45]
	v_fma_f64 v[110:111], v[48:49], s[18:19], v[66:67]
	v_fma_f64 v[112:113], v[48:49], s[24:25], v[74:75]
	s_mov_b32 s16, s24
	v_fma_f64 v[114:115], v[48:49], s[0:1], v[76:77]
	v_fma_f64 v[116:117], v[48:49], s[28:29], v[78:79]
	s_mov_b32 s31, 0xbfe14ced
	s_mov_b32 s30, s26
	v_fma_f64 v[76:77], v[48:49], s[20:21], v[76:77]
	v_fma_f64 v[78:79], v[48:49], s[22:23], v[78:79]
	;; [unrolled: 1-line block ×6, first 2 shown]
	v_add_f64 v[56:57], v[34:35], -v[14:15]
	v_add_f64 v[58:59], v[20:21], v[24:25]
	v_mul_f64 v[82:83], v[54:55], s[12:13]
	v_mul_f64 v[84:85], v[54:55], s[4:5]
	;; [unrolled: 1-line block ×5, first 2 shown]
	v_fma_f64 v[54:55], v[52:53], s[0:1], v[72:73]
	v_add_f64 v[44:45], v[24:25], v[44:45]
	v_fma_f64 v[120:121], v[52:53], s[22:23], v[80:81]
	v_fma_f64 v[122:123], v[52:53], s[16:17], v[94:95]
	v_fma_f64 v[124:125], v[52:53], s[30:31], v[96:97]
	v_fma_f64 v[94:95], v[52:53], s[24:25], v[94:95]
	v_fma_f64 v[96:97], v[52:53], s[26:27], v[96:97]
	v_fma_f64 v[126:127], v[52:53], s[18:19], v[50:51]
	v_fma_f64 v[50:51], v[52:53], s[34:35], v[50:51]
	v_fma_f64 v[72:73], v[52:53], s[20:21], v[72:73]
	v_fma_f64 v[52:53], v[52:53], s[28:29], v[80:81]
	v_add_f64 v[80:81], v[8:9], v[110:111]
	v_add_f64 v[110:111], v[8:9], v[112:113]
	;; [unrolled: 1-line block ×10, first 2 shown]
	v_add_f64 v[60:61], v[26:27], -v[22:23]
	v_add_f64 v[62:63], v[28:29], v[16:17]
	v_add_f64 v[44:45], v[16:17], v[44:45]
	v_mul_f64 v[86:87], v[58:59], s[6:7]
	v_mul_f64 v[88:89], v[58:59], s[14:15]
	;; [unrolled: 1-line block ×5, first 2 shown]
	v_fma_f64 v[58:59], v[56:57], s[22:23], v[82:83]
	v_fma_f64 v[118:119], v[56:57], s[34:35], v[84:85]
	v_fma_f64 v[128:129], v[56:57], s[26:27], v[98:99]
	v_fma_f64 v[130:131], v[56:57], s[0:1], v[100:101]
	v_add_f64 v[54:55], v[54:55], v[80:81]
	v_add_f64 v[80:81], v[120:121], v[110:111]
	v_fma_f64 v[98:99], v[56:57], s[30:31], v[98:99]
	v_fma_f64 v[100:101], v[56:57], s[20:21], v[100:101]
	;; [unrolled: 1-line block ×6, first 2 shown]
	v_add_f64 v[84:85], v[122:123], v[112:113]
	v_add_f64 v[110:111], v[124:125], v[114:115]
	;; [unrolled: 1-line block ×9, first 2 shown]
	v_add_f64 v[64:65], v[18:19], -v[30:31]
	v_mul_f64 v[90:91], v[62:63], s[14:15]
	v_mul_f64 v[92:93], v[62:63], s[10:11]
	;; [unrolled: 1-line block ×5, first 2 shown]
	v_fma_f64 v[62:63], v[60:61], s[16:17], v[86:87]
	v_fma_f64 v[72:73], v[60:61], s[26:27], v[88:89]
	v_add_f64 v[54:55], v[58:59], v[54:55]
	v_add_f64 v[58:59], v[118:119], v[80:81]
	v_fma_f64 v[74:75], v[60:61], s[28:29], v[102:103]
	v_fma_f64 v[96:97], v[60:61], s[34:35], v[104:105]
	;; [unrolled: 1-line block ×7, first 2 shown]
	v_add_f64 v[44:45], v[20:21], v[44:45]
	v_fma_f64 v[46:47], v[60:61], s[20:21], v[46:47]
	v_add_f64 v[60:61], v[128:129], v[84:85]
	v_add_f64 v[80:81], v[130:131], v[110:111]
	;; [unrolled: 1-line block ×8, first 2 shown]
	v_fma_f64 v[48:49], v[64:65], s[30:31], v[90:91]
	v_fma_f64 v[56:57], v[64:65], s[0:1], v[92:93]
	;; [unrolled: 1-line block ×3, first 2 shown]
	v_add_f64 v[54:55], v[62:63], v[54:55]
	v_add_f64 v[58:59], v[72:73], v[58:59]
	v_fma_f64 v[94:95], v[64:65], s[24:25], v[108:109]
	v_fma_f64 v[98:99], v[64:65], s[18:19], v[106:107]
	;; [unrolled: 1-line block ×7, first 2 shown]
	v_add_f64 v[44:45], v[12:13], v[44:45]
	v_cmp_gt_u32_e64 s0, 0x4d, v68
	v_add_f64 v[60:61], v[74:75], v[60:61]
	v_add_f64 v[62:63], v[96:97], v[80:81]
	;; [unrolled: 1-line block ×19, first 2 shown]
	v_mad_u32_u24 v8, 0x58, v68, 0
	v_mad_i32_i24 v69, 0xffffffb0, v68, v8
	v_add_nc_u32_e32 v65, 0x1300, v69
	v_add_nc_u32_e32 v66, 0x1e00, v69
	v_add_f64 v[44:45], v[0:1], v[44:45]
	v_add_nc_u32_e32 v64, 0x800, v69
	v_add_nc_u32_e32 v67, 0x2800, v69
	ds_write2_b64 v8, v[46:47], v[48:49] offset0:2 offset1:3
	ds_write2_b64 v8, v[54:55], v[56:57] offset0:4 offset1:5
	;; [unrolled: 1-line block ×4, first 2 shown]
	ds_write_b64 v8, v[72:73] offset:80
	ds_write2_b64 v8, v[44:45], v[62:63] offset1:1
	s_waitcnt lgkmcnt(0)
	s_barrier
	buffer_gl0_inv
	ds_read2_b64 v[56:59], v69 offset1:154
	ds_read2_b64 v[52:55], v65 offset0:8 offset1:239
	ds_read2_b64 v[48:51], v66 offset0:41 offset1:195
	;; [unrolled: 1-line block ×4, first 2 shown]
                                        ; implicit-def: $vgpr74_vgpr75
	s_and_saveexec_b32 s1, s0
	s_cbranch_execz .LBB0_13
; %bb.12:
	ds_read_b64 v[72:73], v69 offset:6160
	ds_read_b64 v[74:75], v69 offset:12936
.LBB0_13:
	s_or_b32 exec_lo, exec_lo, s1
	v_add_f64 v[76:77], v[42:43], v[10:11]
	v_add_f64 v[0:1], v[40:41], -v[0:1]
	v_add_f64 v[12:13], v[32:33], -v[12:13]
	;; [unrolled: 1-line block ×3, first 2 shown]
	v_add_f64 v[36:37], v[2:3], v[42:43]
	v_add_f64 v[16:17], v[16:17], -v[28:29]
	v_add_f64 v[20:21], v[24:25], -v[20:21]
	v_add_f64 v[24:25], v[6:7], v[38:39]
	v_add_f64 v[40:41], v[30:31], v[18:19]
	s_waitcnt lgkmcnt(0)
	s_barrier
	buffer_gl0_inv
	v_add_f64 v[76:77], v[38:39], v[76:77]
	v_mul_f64 v[28:29], v[0:1], s[30:31]
	v_mul_f64 v[42:43], v[0:1], s[34:35]
	;; [unrolled: 1-line block ×3, first 2 shown]
	v_add_f64 v[38:39], v[22:23], v[26:27]
	v_mul_f64 v[80:81], v[4:5], s[34:35]
	v_mul_f64 v[82:83], v[4:5], s[20:21]
	;; [unrolled: 1-line block ×15, first 2 shown]
	v_add_f64 v[32:33], v[34:35], v[76:77]
	v_mul_f64 v[76:77], v[0:1], s[16:17]
	v_mul_f64 v[0:1], v[0:1], s[22:23]
	v_fma_f64 v[106:107], v[36:37], s[14:15], v[28:29]
	v_fma_f64 v[108:109], v[36:37], s[4:5], v[42:43]
	v_fma_f64 v[42:43], v[36:37], s[4:5], -v[42:43]
	v_fma_f64 v[112:113], v[36:37], s[10:11], v[78:79]
	v_fma_f64 v[78:79], v[36:37], s[10:11], -v[78:79]
	v_fma_f64 v[28:29], v[36:37], s[14:15], -v[28:29]
	v_add_f64 v[34:35], v[14:15], v[34:35]
	v_fma_f64 v[116:117], v[24:25], s[10:11], v[82:83]
	v_fma_f64 v[82:83], v[24:25], s[10:11], -v[82:83]
	v_fma_f64 v[118:119], v[24:25], s[12:13], v[84:85]
	v_fma_f64 v[84:85], v[24:25], s[12:13], -v[84:85]
	;; [unrolled: 2-line block ×4, first 2 shown]
	v_add_f64 v[26:27], v[26:27], v[32:33]
	v_fma_f64 v[110:111], v[36:37], s[6:7], v[76:77]
	v_fma_f64 v[114:115], v[36:37], s[12:13], v[0:1]
	v_fma_f64 v[0:1], v[36:37], s[12:13], -v[0:1]
	v_fma_f64 v[76:77], v[36:37], s[6:7], -v[76:77]
	v_mul_f64 v[32:33], v[12:13], s[28:29]
	v_mul_f64 v[12:13], v[12:13], s[20:21]
	v_fma_f64 v[36:37], v[24:25], s[4:5], v[80:81]
	v_fma_f64 v[80:81], v[24:25], s[4:5], -v[80:81]
	v_add_f64 v[24:25], v[10:11], v[106:107]
	v_add_f64 v[106:107], v[10:11], v[108:109]
	;; [unrolled: 1-line block ×4, first 2 shown]
	v_fma_f64 v[124:125], v[34:35], s[4:5], v[90:91]
	v_fma_f64 v[90:91], v[34:35], s[4:5], -v[90:91]
	v_fma_f64 v[126:127], v[34:35], s[14:15], v[92:93]
	v_fma_f64 v[92:93], v[34:35], s[14:15], -v[92:93]
	v_add_f64 v[18:19], v[18:19], v[26:27]
	v_add_f64 v[108:109], v[10:11], v[110:111]
	;; [unrolled: 1-line block ×7, first 2 shown]
	v_fma_f64 v[114:115], v[34:35], s[12:13], v[32:33]
	v_fma_f64 v[32:33], v[34:35], s[12:13], -v[32:33]
	v_fma_f64 v[128:129], v[34:35], s[10:11], v[12:13]
	v_fma_f64 v[11:12], v[34:35], s[10:11], -v[12:13]
	v_add_f64 v[24:25], v[36:37], v[24:25]
	v_add_f64 v[36:37], v[82:83], v[42:43]
	;; [unrolled: 1-line block ×3, first 2 shown]
	v_mul_f64 v[26:27], v[16:17], s[20:21]
	v_mul_f64 v[28:29], v[16:17], s[18:19]
	v_mul_f64 v[16:17], v[16:17], s[16:17]
	v_add_f64 v[18:19], v[30:31], v[18:19]
	v_fma_f64 v[30:31], v[34:35], s[6:7], v[88:89]
	v_fma_f64 v[88:89], v[34:35], s[6:7], -v[88:89]
	v_add_f64 v[34:35], v[116:117], v[106:107]
	v_add_f64 v[42:43], v[118:119], v[108:109]
	;; [unrolled: 1-line block ×7, first 2 shown]
	v_fma_f64 v[76:77], v[38:39], s[10:11], -v[94:95]
	v_fma_f64 v[80:81], v[38:39], s[6:7], v[96:97]
	v_fma_f64 v[84:85], v[38:39], s[6:7], -v[96:97]
	v_add_f64 v[32:33], v[32:33], v[36:37]
	v_fma_f64 v[96:97], v[38:39], s[14:15], -v[98:99]
	v_fma_f64 v[106:107], v[38:39], s[4:5], v[20:21]
	v_fma_f64 v[20:21], v[38:39], s[4:5], -v[20:21]
	v_add_f64 v[18:19], v[22:23], v[18:19]
	v_fma_f64 v[22:23], v[38:39], s[10:11], v[94:95]
	v_fma_f64 v[94:95], v[38:39], s[14:15], v[98:99]
	v_add_f64 v[24:25], v[30:31], v[24:25]
	v_add_f64 v[30:31], v[114:115], v[34:35]
	;; [unrolled: 1-line block ×3, first 2 shown]
	v_fma_f64 v[98:99], v[38:39], s[12:13], v[100:101]
	v_fma_f64 v[100:101], v[38:39], s[12:13], -v[100:101]
	v_add_f64 v[36:37], v[126:127], v[82:83]
	v_add_f64 v[38:39], v[92:93], v[78:79]
	;; [unrolled: 1-line block ×6, first 2 shown]
	v_fma_f64 v[78:79], v[40:41], s[14:15], v[104:105]
	v_fma_f64 v[86:87], v[40:41], s[10:11], v[26:27]
	v_fma_f64 v[82:83], v[40:41], s[14:15], -v[104:105]
	v_fma_f64 v[88:89], v[40:41], s[4:5], v[28:29]
	v_fma_f64 v[90:91], v[40:41], s[6:7], v[16:17]
	v_fma_f64 v[28:29], v[40:41], s[4:5], -v[28:29]
	v_fma_f64 v[26:27], v[40:41], s[10:11], -v[26:27]
	v_add_f64 v[11:12], v[14:15], v[18:19]
	v_fma_f64 v[13:14], v[40:41], s[12:13], v[102:103]
	v_fma_f64 v[15:16], v[40:41], s[6:7], -v[16:17]
	v_add_f64 v[22:23], v[22:23], v[24:25]
	v_add_f64 v[24:25], v[80:81], v[30:31]
	;; [unrolled: 1-line block ×4, first 2 shown]
	v_fma_f64 v[18:19], v[40:41], s[12:13], -v[102:103]
	v_add_f64 v[34:35], v[98:99], v[36:37]
	v_add_f64 v[36:37], v[100:101], v[38:39]
	;; [unrolled: 1-line block ×6, first 2 shown]
                                        ; implicit-def: $vgpr76_vgpr77
	v_add_f64 v[6:7], v[6:7], v[11:12]
	v_add_f64 v[11:12], v[13:14], v[22:23]
	;; [unrolled: 1-line block ×12, first 2 shown]
	ds_write2_b64 v8, v[13:14], v[22:23] offset0:2 offset1:3
	ds_write2_b64 v8, v[24:25], v[30:31] offset0:4 offset1:5
	;; [unrolled: 1-line block ×4, first 2 shown]
	ds_write_b64 v8, v[42:43] offset:80
	ds_write2_b64 v8, v[2:3], v[11:12] offset1:1
	s_waitcnt lgkmcnt(0)
	s_barrier
	buffer_gl0_inv
	ds_read2_b64 v[6:9], v69 offset1:154
	ds_read2_b64 v[2:5], v65 offset0:8 offset1:239
	ds_read2_b64 v[10:13], v66 offset0:41 offset1:195
	;; [unrolled: 1-line block ×4, first 2 shown]
	s_and_saveexec_b32 s1, s0
	s_cbranch_execz .LBB0_15
; %bb.14:
	ds_read_b64 v[42:43], v69 offset:6160
	ds_read_b64 v[76:77], v69 offset:12936
.LBB0_15:
	s_or_b32 exec_lo, exec_lo, s1
	v_and_b32_e32 v0, 0xff, v68
	v_add_nc_u32_e32 v78, 0x9a, v68
	v_mov_b32_e32 v20, 0xba2f
	v_add_nc_u32_e32 v18, 0x134, v68
	v_add_nc_u32_e32 v19, 0x1ce, v68
	v_mul_lo_u16 v0, 0x75, v0
	v_add_nc_u32_e32 v21, 0x268, v68
	v_mul_u32_u24_sdwa v26, v78, v20 dst_sel:DWORD dst_unused:UNUSED_PAD src0_sel:WORD_0 src1_sel:DWORD
	v_add_nc_u32_e32 v79, 0x302, v68
	v_mul_u32_u24_sdwa v27, v19, v20 dst_sel:DWORD dst_unused:UNUSED_PAD src0_sel:WORD_0 src1_sel:DWORD
	v_lshrrev_b16 v0, 8, v0
	v_mul_u32_u24_sdwa v28, v21, v20 dst_sel:DWORD dst_unused:UNUSED_PAD src0_sel:WORD_0 src1_sel:DWORD
	v_lshrrev_b32_e32 v94, 19, v26
	v_mov_b32_e32 v80, 4
	v_lshrrev_b32_e32 v96, 19, v27
	v_sub_nc_u16 v1, v68, v0
	v_lshrrev_b32_e32 v99, 19, v28
	v_mul_u32_u24_e32 v106, 0xb0, v94
	v_mul_lo_u16 v27, v96, 11
	v_lshrrev_b16 v1, 1, v1
	v_mul_lo_u16 v28, v99, 11
	v_mul_u32_u24_e32 v108, 0xb0, v96
	v_sub_nc_u16 v103, v19, v27
	v_and_b32_e32 v1, 0x7f, v1
	v_sub_nc_u16 v104, v21, v28
	v_lshlrev_b32_sdwa v19, v80, v103 dst_sel:DWORD dst_unused:UNUSED_PAD src0_sel:DWORD src1_sel:WORD_0
	v_add_nc_u16 v0, v1, v0
	v_mul_u32_u24_sdwa v1, v18, v20 dst_sel:DWORD dst_unused:UNUSED_PAD src0_sel:WORD_0 src1_sel:DWORD
	v_mul_u32_u24_sdwa v20, v79, v20 dst_sel:DWORD dst_unused:UNUSED_PAD src0_sel:WORD_0 src1_sel:DWORD
	v_lshlrev_b32_sdwa v21, v80, v104 dst_sel:DWORD dst_unused:UNUSED_PAD src0_sel:DWORD src1_sel:WORD_0
	v_lshrrev_b16 v98, 3, v0
	v_lshrrev_b32_e32 v95, 19, v1
	v_mul_lo_u16 v1, v94, 11
	v_lshrrev_b32_e32 v105, 19, v20
	v_mul_lo_u16 v0, v98, 11
	v_mul_lo_u16 v26, v95, 11
	v_sub_nc_u16 v101, v78, v1
	v_mul_u32_u24_e32 v107, 0xb0, v95
	v_sub_nc_u16 v100, v68, v0
	v_sub_nc_u16 v102, v18, v26
	v_lshlrev_b32_sdwa v1, v80, v101 dst_sel:DWORD dst_unused:UNUSED_PAD src0_sel:DWORD src1_sel:WORD_0
	v_lshlrev_b32_sdwa v0, v80, v100 dst_sel:DWORD dst_unused:UNUSED_PAD src0_sel:DWORD src1_sel:BYTE_0
	v_lshlrev_b32_sdwa v18, v80, v102 dst_sel:DWORD dst_unused:UNUSED_PAD src0_sel:DWORD src1_sel:WORD_0
	s_clause 0x4
	global_load_dwordx4 v[26:29], v0, s[8:9]
	global_load_dwordx4 v[30:33], v1, s[8:9]
	;; [unrolled: 1-line block ×5, first 2 shown]
	v_mul_lo_u16 v0, v105, 11
	v_sub_nc_u16 v79, v79, v0
	v_lshlrev_b32_sdwa v0, v80, v79 dst_sel:DWORD dst_unused:UNUSED_PAD src0_sel:DWORD src1_sel:WORD_0
	global_load_dwordx4 v[18:21], v0, s[8:9]
	s_waitcnt vmcnt(0) lgkmcnt(0)
	s_barrier
	buffer_gl0_inv
	v_mul_f64 v[0:1], v[4:5], v[28:29]
	v_mul_f64 v[80:81], v[10:11], v[32:33]
	;; [unrolled: 1-line block ×6, first 2 shown]
	v_fma_f64 v[0:1], v[54:55], v[26:27], -v[0:1]
	v_fma_f64 v[80:81], v[48:49], v[30:31], -v[80:81]
	;; [unrolled: 1-line block ×5, first 2 shown]
	v_add_f64 v[90:91], v[56:57], -v[0:1]
	v_fma_f64 v[0:1], v[74:75], v[18:19], -v[88:89]
	v_add_f64 v[92:93], v[58:59], -v[80:81]
	v_add_f64 v[81:82], v[60:61], -v[82:83]
	;; [unrolled: 1-line block ×4, first 2 shown]
	v_mov_b32_e32 v89, 0xb0
	v_mov_b32_e32 v80, 3
	v_fma_f64 v[87:88], v[56:57], 2.0, -v[90:91]
	v_add_f64 v[0:1], v[72:73], -v[0:1]
	v_fma_f64 v[94:95], v[58:59], 2.0, -v[92:93]
	v_fma_f64 v[60:61], v[60:61], 2.0, -v[81:82]
	;; [unrolled: 1-line block ×4, first 2 shown]
	v_mul_u32_u24_e32 v58, 0xb0, v99
	v_lshlrev_b32_sdwa v53, v80, v101 dst_sel:DWORD dst_unused:UNUSED_PAD src0_sel:DWORD src1_sel:WORD_0
	v_lshlrev_b32_sdwa v56, v80, v102 dst_sel:DWORD dst_unused:UNUSED_PAD src0_sel:DWORD src1_sel:WORD_0
	v_lshlrev_b32_sdwa v57, v80, v103 dst_sel:DWORD dst_unused:UNUSED_PAD src0_sel:DWORD src1_sel:WORD_0
	v_mul_u32_u24_sdwa v59, v98, v89 dst_sel:DWORD dst_unused:UNUSED_PAD src0_sel:WORD_0 src1_sel:DWORD
	v_lshlrev_b32_sdwa v89, v80, v100 dst_sel:DWORD dst_unused:UNUSED_PAD src0_sel:DWORD src1_sel:BYTE_0
	v_lshlrev_b32_sdwa v98, v80, v104 dst_sel:DWORD dst_unused:UNUSED_PAD src0_sel:DWORD src1_sel:WORD_0
	v_mul_lo_u16 v52, v105, 22
	v_add3_u32 v53, 0, v106, v53
	v_add3_u32 v56, 0, v107, v56
	;; [unrolled: 1-line block ×5, first 2 shown]
	ds_write2_b64 v59, v[87:88], v[90:91] offset1:11
	ds_write2_b64 v53, v[94:95], v[92:93] offset1:11
	;; [unrolled: 1-line block ×5, first 2 shown]
	s_and_saveexec_b32 s1, s0
	s_cbranch_execz .LBB0_17
; %bb.16:
	v_fma_f64 v[60:61], v[72:73], 2.0, -v[0:1]
	v_lshlrev_b32_sdwa v62, v80, v79 dst_sel:DWORD dst_unused:UNUSED_PAD src0_sel:DWORD src1_sel:WORD_0
	v_lshlrev_b32_sdwa v63, v80, v52 dst_sel:DWORD dst_unused:UNUSED_PAD src0_sel:DWORD src1_sel:WORD_0
	v_add3_u32 v62, 0, v62, v63
	ds_write2_b64 v62, v[60:61], v[0:1] offset1:11
.LBB0_17:
	s_or_b32 exec_lo, exec_lo, s1
	v_mul_f64 v[28:29], v[54:55], v[28:29]
	v_mul_f64 v[32:33], v[48:49], v[32:33]
	;; [unrolled: 1-line block ×6, first 2 shown]
	s_waitcnt lgkmcnt(0)
	s_barrier
	buffer_gl0_inv
	v_fma_f64 v[4:5], v[4:5], v[26:27], v[28:29]
	v_fma_f64 v[10:11], v[10:11], v[30:31], v[32:33]
	;; [unrolled: 1-line block ×5, first 2 shown]
	v_add_nc_u32_e32 v34, 0x800, v69
	v_add_nc_u32_e32 v35, 0x1c00, v69
	v_lshl_add_u32 v37, v68, 3, 0
	v_add_nc_u32_e32 v36, 0x2400, v69
	ds_read_b64 v[30:31], v69 offset:4928
	v_add_f64 v[32:33], v[6:7], -v[4:5]
	v_fma_f64 v[4:5], v[76:77], v[18:19], v[20:21]
	v_add_f64 v[38:39], v[8:9], -v[10:11]
	v_add_f64 v[40:41], v[22:23], -v[12:13]
	;; [unrolled: 1-line block ×4, first 2 shown]
	ds_read2_b64 v[10:13], v69 offset1:154
	ds_read2_b64 v[26:29], v34 offset0:52 offset1:206
	ds_read2_b64 v[14:17], v35 offset0:28 offset1:182
	;; [unrolled: 1-line block ×3, first 2 shown]
	v_fma_f64 v[6:7], v[6:7], 2.0, -v[32:33]
	v_add_f64 v[4:5], v[42:43], -v[4:5]
	v_fma_f64 v[8:9], v[8:9], 2.0, -v[38:39]
	v_fma_f64 v[48:49], v[22:23], 2.0, -v[40:41]
	;; [unrolled: 1-line block ×3, first 2 shown]
	ds_read_b64 v[22:23], v37 offset:6160
	ds_read_b64 v[2:3], v69 offset:12320
	v_fma_f64 v[24:25], v[24:25], 2.0, -v[44:45]
	s_waitcnt lgkmcnt(0)
	s_barrier
	buffer_gl0_inv
	ds_write2_b64 v59, v[6:7], v[32:33] offset1:11
	ds_write2_b64 v53, v[8:9], v[38:39] offset1:11
	ds_write2_b64 v56, v[48:49], v[40:41] offset1:11
	ds_write2_b64 v57, v[24:25], v[44:45] offset1:11
	ds_write2_b64 v58, v[50:51], v[46:47] offset1:11
	s_and_saveexec_b32 s1, s0
	s_cbranch_execz .LBB0_19
; %bb.18:
	v_fma_f64 v[6:7], v[42:43], 2.0, -v[4:5]
	v_mov_b32_e32 v8, 3
	v_lshlrev_b32_sdwa v9, v8, v79 dst_sel:DWORD dst_unused:UNUSED_PAD src0_sel:DWORD src1_sel:WORD_0
	v_lshlrev_b32_sdwa v8, v8, v52 dst_sel:DWORD dst_unused:UNUSED_PAD src0_sel:DWORD src1_sel:WORD_0
	v_add3_u32 v8, 0, v9, v8
	ds_write2_b64 v8, v[6:7], v[4:5] offset1:11
.LBB0_19:
	s_or_b32 exec_lo, exec_lo, s1
	v_lshrrev_b16 v6, 1, v68
	v_mov_b32_e32 v7, 10
	s_waitcnt lgkmcnt(0)
	s_barrier
	buffer_gl0_inv
	v_and_b32_e32 v6, 0x7f, v6
	s_mov_b32 s16, 0xf8bb580b
	s_mov_b32 s20, 0x8eee2c13
	;; [unrolled: 1-line block ×4, first 2 shown]
	v_mul_lo_u16 v6, 0xbb, v6
	s_mov_b32 s21, 0xbfed1bb4
	s_mov_b32 s13, 0xbfefac9e
	;; [unrolled: 1-line block ×4, first 2 shown]
	v_lshrrev_b16 v32, 11, v6
	s_mov_b32 s23, 0xbfe82f19
	s_mov_b32 s25, 0xbfd207e7
	;; [unrolled: 1-line block ×4, first 2 shown]
	v_mul_lo_u16 v6, v32, 22
	s_mov_b32 s10, 0x640f44db
	s_mov_b32 s5, 0x3feaeb8c
	;; [unrolled: 1-line block ×4, first 2 shown]
	v_sub_nc_u16 v33, v68, v6
	s_mov_b32 s14, 0x7f775887
	s_mov_b32 s18, 0x9bcd5057
	;; [unrolled: 1-line block ×4, first 2 shown]
	v_mul_u32_u24_sdwa v6, v33, v7 dst_sel:DWORD dst_unused:UNUSED_PAD src0_sel:BYTE_0 src1_sel:DWORD
	s_mov_b32 s31, 0x3fe14ced
	s_mov_b32 s28, s24
	;; [unrolled: 1-line block ×4, first 2 shown]
	v_lshlrev_b32_e32 v6, 4, v6
	s_mov_b32 s15, 0xbfe4f49e
	s_mov_b32 s19, 0xbfeeb42a
	;; [unrolled: 1-line block ×4, first 2 shown]
	s_clause 0x9
	global_load_dwordx4 v[38:41], v6, s[8:9] offset:176
	global_load_dwordx4 v[42:45], v6, s[8:9] offset:192
	;; [unrolled: 1-line block ×10, first 2 shown]
	ds_read2_b64 v[6:9], v69 offset1:154
	ds_read2_b64 v[64:67], v34 offset0:52 offset1:206
	ds_read_b64 v[46:47], v69 offset:4928
	ds_read2_b64 v[99:102], v35 offset0:28 offset1:182
	ds_read2_b64 v[103:106], v36 offset0:80 offset1:234
	ds_read_b64 v[34:35], v37 offset:6160
	ds_read_b64 v[36:37], v69 offset:12320
	s_waitcnt vmcnt(0) lgkmcnt(0)
	s_barrier
	buffer_gl0_inv
	v_cmp_gt_u32_e64 s0, 0x58, v68
	v_mul_f64 v[24:25], v[8:9], v[40:41]
	v_mul_f64 v[56:57], v[64:65], v[44:45]
	v_mul_f64 v[117:118], v[36:37], v[50:51]
	v_mul_f64 v[76:77], v[20:21], v[74:75]
	v_mul_f64 v[107:108], v[46:47], v[81:82]
	v_mul_f64 v[81:82], v[30:31], v[81:82]
	v_mul_f64 v[111:112], v[18:19], v[89:90]
	v_mul_f64 v[121:122], v[105:106], v[74:75]
	v_mul_f64 v[109:110], v[34:35], v[85:86]
	v_mul_f64 v[85:86], v[22:23], v[85:86]
	v_mul_f64 v[115:116], v[99:100], v[93:94]
	v_mul_f64 v[93:94], v[14:15], v[93:94]
	v_mul_f64 v[119:120], v[16:17], v[97:98]
	v_mul_f64 v[89:90], v[103:104], v[89:90]
	v_mul_f64 v[97:98], v[101:102], v[97:98]
	v_fma_f64 v[58:59], v[12:13], v[38:39], -v[24:25]
	v_mul_f64 v[12:13], v[12:13], v[40:41]
	v_mul_f64 v[24:25], v[2:3], v[50:51]
	;; [unrolled: 1-line block ×4, first 2 shown]
	v_fma_f64 v[62:63], v[26:27], v[42:43], -v[56:57]
	v_mul_f64 v[54:55], v[28:29], v[54:55]
	v_fma_f64 v[74:75], v[2:3], v[48:49], -v[117:118]
	v_fma_f64 v[56:57], v[30:31], v[79:80], -v[107:108]
	v_fma_f64 v[26:27], v[103:104], v[87:88], v[111:112]
	v_add_f64 v[113:114], v[10:11], v[58:59]
	v_fma_f64 v[60:61], v[8:9], v[38:39], v[12:13]
	v_fma_f64 v[36:37], v[36:37], v[48:49], v[24:25]
	;; [unrolled: 1-line block ×3, first 2 shown]
	v_fma_f64 v[64:65], v[28:29], v[52:53], -v[44:45]
	v_fma_f64 v[24:25], v[105:106], v[72:73], v[76:77]
	v_fma_f64 v[54:55], v[66:67], v[52:53], v[54:55]
	;; [unrolled: 1-line block ×3, first 2 shown]
	v_fma_f64 v[72:73], v[20:21], v[72:73], -v[121:122]
	v_add_f64 v[20:21], v[58:59], v[74:75]
	v_fma_f64 v[44:45], v[22:23], v[83:84], -v[109:110]
	v_fma_f64 v[40:41], v[34:35], v[83:84], v[85:86]
	v_fma_f64 v[46:47], v[14:15], v[91:92], -v[115:116]
	v_fma_f64 v[38:39], v[101:102], v[95:96], v[119:120]
	v_fma_f64 v[66:67], v[18:19], v[87:88], -v[89:90]
	v_fma_f64 v[18:19], v[16:17], v[95:96], -v[97:98]
	v_fma_f64 v[16:17], v[99:100], v[91:92], v[93:94]
	v_add_f64 v[8:9], v[113:114], v[62:63]
	v_add_f64 v[2:3], v[60:61], -v[36:37]
	v_add_f64 v[12:13], v[50:51], -v[24:25]
	;; [unrolled: 1-line block ×3, first 2 shown]
	v_add_f64 v[28:29], v[62:63], v[72:73]
	v_add_f64 v[48:49], v[44:45], v[46:47]
	v_add_f64 v[22:23], v[42:43], -v[38:39]
	v_add_f64 v[30:31], v[64:65], v[66:67]
	v_add_f64 v[34:35], v[56:57], v[18:19]
	v_add_f64 v[52:53], v[40:41], -v[16:17]
	v_add_f64 v[8:9], v[8:9], v[64:65]
	v_mul_f64 v[76:77], v[2:3], s[16:17]
	v_mul_f64 v[79:80], v[2:3], s[20:21]
	;; [unrolled: 1-line block ×20, first 2 shown]
	v_add_f64 v[8:9], v[8:9], v[56:57]
	v_mul_f64 v[109:110], v[52:53], s[24:25]
	v_fma_f64 v[113:114], v[20:21], s[4:5], -v[76:77]
	v_fma_f64 v[115:116], v[20:21], s[6:7], -v[79:80]
	v_fma_f64 v[79:80], v[20:21], s[6:7], v[79:80]
	v_fma_f64 v[117:118], v[20:21], s[10:11], -v[81:82]
	v_fma_f64 v[119:120], v[20:21], s[14:15], -v[83:84]
	v_fma_f64 v[83:84], v[20:21], s[14:15], v[83:84]
	v_fma_f64 v[121:122], v[20:21], s[18:19], -v[2:3]
	v_fma_f64 v[2:3], v[20:21], s[18:19], v[2:3]
	v_fma_f64 v[81:82], v[20:21], s[10:11], v[81:82]
	;; [unrolled: 1-line block ×3, first 2 shown]
	v_fma_f64 v[123:124], v[28:29], s[6:7], -v[85:86]
	v_fma_f64 v[85:86], v[28:29], s[6:7], v[85:86]
	v_fma_f64 v[125:126], v[28:29], s[14:15], -v[87:88]
	v_fma_f64 v[87:88], v[28:29], s[14:15], v[87:88]
	v_fma_f64 v[127:128], v[28:29], s[18:19], -v[89:90]
	v_fma_f64 v[89:90], v[28:29], s[18:19], v[89:90]
	v_fma_f64 v[129:130], v[28:29], s[10:11], -v[91:92]
	v_fma_f64 v[91:92], v[28:29], s[10:11], v[91:92]
	v_fma_f64 v[131:132], v[28:29], s[4:5], -v[12:13]
	v_fma_f64 v[12:13], v[28:29], s[4:5], v[12:13]
	v_add_f64 v[8:9], v[8:9], v[44:45]
	v_fma_f64 v[133:134], v[30:31], s[18:19], -v[95:96]
	v_add_f64 v[28:29], v[10:11], v[113:114]
	v_add_f64 v[113:114], v[10:11], v[115:116]
	;; [unrolled: 1-line block ×10, first 2 shown]
	v_fma_f64 v[121:122], v[30:31], s[10:11], -v[93:94]
	v_fma_f64 v[93:94], v[30:31], s[10:11], v[93:94]
	v_fma_f64 v[95:96], v[30:31], s[18:19], v[95:96]
	v_fma_f64 v[135:136], v[30:31], s[6:7], -v[97:98]
	v_fma_f64 v[97:98], v[30:31], s[6:7], v[97:98]
	v_fma_f64 v[137:138], v[30:31], s[4:5], -v[99:100]
	;; [unrolled: 2-line block ×3, first 2 shown]
	v_fma_f64 v[14:15], v[30:31], s[14:15], v[14:15]
	v_mul_f64 v[111:112], v[52:53], s[30:31]
	v_add_f64 v[8:9], v[8:9], v[46:47]
	v_mul_f64 v[76:77], v[52:53], s[22:23]
	v_add_f64 v[28:29], v[123:124], v[28:29]
	v_add_f64 v[30:31], v[125:126], v[113:114]
	;; [unrolled: 1-line block ×10, first 2 shown]
	v_mul_f64 v[20:21], v[52:53], s[26:27]
	v_mul_f64 v[52:53], v[52:53], s[12:13]
	v_fma_f64 v[81:82], v[34:35], s[14:15], -v[101:102]
	v_fma_f64 v[85:86], v[34:35], s[14:15], v[101:102]
	v_fma_f64 v[89:90], v[34:35], s[10:11], -v[103:104]
	v_fma_f64 v[101:102], v[34:35], s[10:11], v[103:104]
	;; [unrolled: 2-line block ×4, first 2 shown]
	v_add_f64 v[8:9], v[8:9], v[18:19]
	v_fma_f64 v[117:118], v[34:35], s[6:7], -v[22:23]
	v_fma_f64 v[22:23], v[34:35], s[6:7], v[22:23]
	v_add_f64 v[30:31], v[133:134], v[30:31]
	v_add_f64 v[34:35], v[95:96], v[79:80]
	;; [unrolled: 1-line block ×10, first 2 shown]
	v_fma_f64 v[14:15], v[48:49], s[18:19], -v[109:110]
	v_fma_f64 v[93:94], v[48:49], s[18:19], v[109:110]
	v_fma_f64 v[95:96], v[48:49], s[4:5], -v[111:112]
	v_fma_f64 v[97:98], v[48:49], s[4:5], v[111:112]
	;; [unrolled: 2-line block ×4, first 2 shown]
	v_fma_f64 v[111:112], v[48:49], s[10:11], -v[52:53]
	v_add_f64 v[8:9], v[8:9], v[66:67]
	v_fma_f64 v[48:49], v[48:49], s[10:11], v[52:53]
	v_add_f64 v[30:31], v[89:90], v[30:31]
	v_add_f64 v[34:35], v[101:102], v[34:35]
	;; [unrolled: 1-line block ×21, first 2 shown]
	v_mov_b32_e32 v48, 0x790
	v_mov_b32_e32 v49, 3
	v_add_nc_u32_e32 v76, 0xf00, v69
	v_add_nc_u32_e32 v77, 0x1e00, v69
	v_mul_u32_u24_sdwa v32, v32, v48 dst_sel:DWORD dst_unused:UNUSED_PAD src0_sel:WORD_0 src1_sel:DWORD
	v_lshlrev_b32_sdwa v33, v49, v33 dst_sel:DWORD dst_unused:UNUSED_PAD src0_sel:DWORD src1_sel:BYTE_0
                                        ; implicit-def: $vgpr48_vgpr49
	v_add_f64 v[22:23], v[87:88], v[74:75]
	v_add3_u32 v79, 0, v32, v33
	ds_write2_b64 v79, v[30:31], v[34:35] offset0:44 offset1:66
	ds_write2_b64 v79, v[52:53], v[20:21] offset0:88 offset1:110
	;; [unrolled: 1-line block ×4, first 2 shown]
	ds_write_b64 v79, v[14:15] offset:1760
	ds_write2_b64 v79, v[22:23], v[28:29] offset1:22
	s_waitcnt lgkmcnt(0)
	s_barrier
	buffer_gl0_inv
	ds_read2_b64 v[20:23], v69 offset1:242
	ds_read2_b64 v[28:31], v76 offset0:4 offset1:246
	ds_read2_b64 v[32:35], v77 offset0:8 offset1:250
	ds_read_b64 v[52:53], v69 offset:11616
	s_and_saveexec_b32 s1, s0
	s_cbranch_execz .LBB0_21
; %bb.20:
	v_add_nc_u32_e32 v0, 0x480, v69
	v_add_nc_u32_e32 v1, 0x13c0, v69
	;; [unrolled: 1-line block ×3, first 2 shown]
	ds_read2_b64 v[8:11], v0 offset0:10 offset1:252
	ds_read2_b64 v[12:15], v1 offset0:6 offset1:248
	;; [unrolled: 1-line block ×3, first 2 shown]
	ds_read_b64 v[48:49], v69 offset:12848
.LBB0_21:
	s_or_b32 exec_lo, exec_lo, s1
	v_add_f64 v[80:81], v[6:7], v[60:61]
	v_add_f64 v[58:59], v[58:59], -v[74:75]
	v_add_f64 v[64:65], v[64:65], -v[66:67]
	;; [unrolled: 1-line block ×3, first 2 shown]
	v_add_f64 v[60:61], v[60:61], v[36:37]
	v_add_f64 v[44:45], v[44:45], -v[46:47]
	v_add_f64 v[18:19], v[56:57], -v[18:19]
	v_add_f64 v[56:57], v[42:43], v[38:39]
	v_add_f64 v[72:73], v[40:41], v[16:17]
	s_waitcnt lgkmcnt(0)
	s_barrier
	buffer_gl0_inv
	v_add_f64 v[80:81], v[80:81], v[50:51]
	v_mul_f64 v[46:47], v[58:59], s[16:17]
	v_mul_f64 v[74:75], v[58:59], s[20:21]
	;; [unrolled: 1-line block ×3, first 2 shown]
	v_add_f64 v[50:51], v[50:51], v[24:25]
	v_mul_f64 v[84:85], v[62:63], s[20:21]
	v_mul_f64 v[86:87], v[62:63], s[22:23]
	;; [unrolled: 1-line block ×15, first 2 shown]
	v_add_f64 v[66:67], v[80:81], v[54:55]
	v_mul_f64 v[80:81], v[58:59], s[12:13]
	v_mul_f64 v[58:59], v[58:59], s[24:25]
	v_fma_f64 v[110:111], v[60:61], s[4:5], v[46:47]
	v_fma_f64 v[112:113], v[60:61], s[6:7], v[74:75]
	v_fma_f64 v[74:75], v[60:61], s[6:7], -v[74:75]
	v_fma_f64 v[116:117], v[60:61], s[14:15], v[82:83]
	v_fma_f64 v[82:83], v[60:61], s[14:15], -v[82:83]
	v_fma_f64 v[46:47], v[60:61], s[4:5], -v[46:47]
	v_add_f64 v[54:55], v[54:55], v[26:27]
	v_fma_f64 v[120:121], v[50:51], s[14:15], v[86:87]
	v_fma_f64 v[86:87], v[50:51], s[14:15], -v[86:87]
	v_fma_f64 v[122:123], v[50:51], s[18:19], v[88:89]
	v_fma_f64 v[88:89], v[50:51], s[18:19], -v[88:89]
	;; [unrolled: 2-line block ×3, first 2 shown]
	v_fma_f64 v[126:127], v[50:51], s[4:5], v[62:63]
	v_add_f64 v[42:43], v[66:67], v[42:43]
	v_fma_f64 v[114:115], v[60:61], s[10:11], v[80:81]
	v_fma_f64 v[118:119], v[60:61], s[18:19], v[58:59]
	v_fma_f64 v[58:59], v[60:61], s[18:19], -v[58:59]
	v_fma_f64 v[80:81], v[60:61], s[10:11], -v[80:81]
	v_mul_f64 v[66:67], v[64:65], s[28:29]
	v_mul_f64 v[64:65], v[64:65], s[22:23]
	v_fma_f64 v[60:61], v[50:51], s[6:7], v[84:85]
	v_fma_f64 v[84:85], v[50:51], s[6:7], -v[84:85]
	v_fma_f64 v[50:51], v[50:51], s[4:5], -v[62:63]
	v_add_f64 v[62:63], v[6:7], v[110:111]
	v_add_f64 v[110:111], v[6:7], v[112:113]
	;; [unrolled: 1-line block ×4, first 2 shown]
	v_fma_f64 v[128:129], v[54:55], s[6:7], v[94:95]
	v_fma_f64 v[94:95], v[54:55], s[6:7], -v[94:95]
	v_fma_f64 v[130:131], v[54:55], s[4:5], v[96:97]
	v_fma_f64 v[96:97], v[54:55], s[4:5], -v[96:97]
	v_add_f64 v[40:41], v[42:43], v[40:41]
	v_add_f64 v[112:113], v[6:7], v[114:115]
	;; [unrolled: 1-line block ×7, first 2 shown]
	v_fma_f64 v[46:47], v[54:55], s[10:11], v[92:93]
	v_fma_f64 v[92:93], v[54:55], s[10:11], -v[92:93]
	v_fma_f64 v[118:119], v[54:55], s[18:19], v[66:67]
	v_fma_f64 v[66:67], v[54:55], s[18:19], -v[66:67]
	;; [unrolled: 2-line block ×3, first 2 shown]
	v_add_f64 v[60:61], v[60:61], v[62:63]
	v_add_f64 v[62:63], v[120:121], v[110:111]
	v_add_f64 v[64:65], v[86:87], v[74:75]
	v_add_f64 v[82:83], v[90:91], v[82:83]
	v_mul_f64 v[42:43], v[44:45], s[22:23]
	v_fma_f64 v[110:111], v[56:57], s[6:7], v[18:19]
	v_fma_f64 v[18:19], v[56:57], s[6:7], -v[18:19]
	v_add_f64 v[16:17], v[40:41], v[16:17]
	v_add_f64 v[74:75], v[122:123], v[112:113]
	;; [unrolled: 1-line block ×7, first 2 shown]
	v_mul_f64 v[40:41], v[44:45], s[26:27]
	v_fma_f64 v[80:81], v[56:57], s[14:15], -v[98:99]
	v_fma_f64 v[84:85], v[56:57], s[10:11], v[100:101]
	v_fma_f64 v[88:89], v[56:57], s[10:11], -v[100:101]
	v_fma_f64 v[100:101], v[56:57], s[4:5], -v[102:103]
	v_add_f64 v[46:47], v[46:47], v[60:61]
	v_add_f64 v[60:61], v[66:67], v[64:65]
	;; [unrolled: 1-line block ×3, first 2 shown]
	v_fma_f64 v[82:83], v[72:73], s[4:5], v[108:109]
	v_add_f64 v[16:17], v[16:17], v[38:39]
	v_mul_f64 v[38:39], v[44:45], s[12:13]
	v_fma_f64 v[44:45], v[56:57], s[14:15], v[98:99]
	v_fma_f64 v[98:99], v[56:57], s[4:5], v[102:103]
	;; [unrolled: 1-line block ×3, first 2 shown]
	v_fma_f64 v[104:105], v[56:57], s[18:19], -v[104:105]
	v_add_f64 v[56:57], v[118:119], v[62:63]
	v_add_f64 v[62:63], v[128:129], v[74:75]
	;; [unrolled: 1-line block ×7, first 2 shown]
	v_fma_f64 v[86:87], v[72:73], s[4:5], -v[108:109]
	v_fma_f64 v[90:91], v[72:73], s[14:15], v[42:43]
	v_fma_f64 v[92:93], v[72:73], s[6:7], v[40:41]
	v_fma_f64 v[40:41], v[72:73], s[6:7], -v[40:41]
	v_fma_f64 v[42:43], v[72:73], s[14:15], -v[42:43]
	;; [unrolled: 1-line block ×3, first 2 shown]
	v_add_f64 v[16:17], v[16:17], v[26:27]
	v_fma_f64 v[94:95], v[72:73], s[10:11], v[38:39]
	v_add_f64 v[44:45], v[44:45], v[46:47]
	v_fma_f64 v[38:39], v[72:73], s[10:11], -v[38:39]
	v_fma_f64 v[26:27], v[72:73], s[18:19], v[106:107]
	v_add_f64 v[46:47], v[84:85], v[56:57]
	v_add_f64 v[56:57], v[88:89], v[60:61]
	;; [unrolled: 1-line block ×20, first 2 shown]
                                        ; implicit-def: $vgpr50_vgpr51
	v_add_f64 v[6:7], v[54:55], v[36:37]
	ds_write2_b64 v79, v[46:47], v[56:57] offset0:44 offset1:66
	ds_write2_b64 v79, v[60:61], v[40:41] offset0:88 offset1:110
	;; [unrolled: 1-line block ×4, first 2 shown]
	ds_write_b64 v79, v[26:27] offset:1760
	ds_write2_b64 v79, v[6:7], v[44:45] offset1:22
	s_waitcnt lgkmcnt(0)
	s_barrier
	buffer_gl0_inv
	ds_read2_b64 v[36:39], v69 offset1:242
	ds_read2_b64 v[40:43], v76 offset0:4 offset1:246
	ds_read2_b64 v[44:47], v77 offset0:8 offset1:250
	ds_read_b64 v[54:55], v69 offset:11616
	s_and_saveexec_b32 s1, s0
	s_cbranch_execz .LBB0_23
; %bb.22:
	v_add_nc_u32_e32 v4, 0x480, v69
	v_add_nc_u32_e32 v5, 0x13c0, v69
	;; [unrolled: 1-line block ×3, first 2 shown]
	ds_read2_b64 v[16:19], v4 offset0:10 offset1:252
	ds_read2_b64 v[24:27], v5 offset0:6 offset1:248
	;; [unrolled: 1-line block ×3, first 2 shown]
	ds_read_b64 v[50:51], v69 offset:12848
.LBB0_23:
	s_or_b32 exec_lo, exec_lo, s1
	s_and_saveexec_b32 s1, vcc_lo
	s_cbranch_execz .LBB0_26
; %bb.24:
	v_mul_u32_u24_e32 v56, 6, v68
	s_mov_b32 s6, 0xe976ee23
	s_mov_b32 s12, 0x36b3c0b5
	;; [unrolled: 1-line block ×4, first 2 shown]
	v_lshlrev_b32_e32 v56, 4, v56
	s_mov_b32 s7, 0xbfe11646
	s_mov_b32 s13, 0x3fac98ee
	;; [unrolled: 1-line block ×4, first 2 shown]
	v_add_co_u32 v56, s1, s8, v56
	v_add_co_ci_u32_e64 v57, null, s9, 0, s1
	s_mov_b32 s4, 0xb247c609
	v_add_co_u32 v76, vcc_lo, 0xe70, v56
	v_add_co_ci_u32_e32 v77, vcc_lo, 0, v57, vcc_lo
	v_add_co_u32 v64, vcc_lo, 0x800, v56
	v_add_co_ci_u32_e32 v65, vcc_lo, 0, v57, vcc_lo
	;; [unrolled: 2-line block ×3, first 2 shown]
	s_clause 0x5
	global_load_dwordx4 v[56:59], v[76:77], off offset:16
	global_load_dwordx4 v[60:63], v[64:65], off offset:1712
	;; [unrolled: 1-line block ×6, first 2 shown]
	s_mov_b32 s14, 0xaaaaaaaa
	s_mov_b32 s16, 0x5476071b
	;; [unrolled: 1-line block ×11, first 2 shown]
	v_mov_b32_e32 v69, 0
	s_waitcnt vmcnt(5) lgkmcnt(2)
	v_mul_f64 v[76:77], v[40:41], v[58:59]
	s_waitcnt vmcnt(4) lgkmcnt(1)
	v_mul_f64 v[87:88], v[46:47], v[62:63]
	v_mul_f64 v[58:59], v[28:29], v[58:59]
	;; [unrolled: 1-line block ×3, first 2 shown]
	s_waitcnt vmcnt(3)
	v_mul_f64 v[89:90], v[22:23], v[66:67]
	s_waitcnt vmcnt(2)
	v_mul_f64 v[91:92], v[52:53], v[74:75]
	v_mul_f64 v[66:67], v[38:39], v[66:67]
	s_waitcnt lgkmcnt(0)
	v_mul_f64 v[74:75], v[54:55], v[74:75]
	s_waitcnt vmcnt(1)
	v_mul_f64 v[93:94], v[44:45], v[81:82]
	s_waitcnt vmcnt(0)
	v_mul_f64 v[95:96], v[42:43], v[85:86]
	v_mul_f64 v[85:86], v[30:31], v[85:86]
	;; [unrolled: 1-line block ×3, first 2 shown]
	v_fma_f64 v[28:29], v[28:29], v[56:57], -v[76:77]
	v_fma_f64 v[34:35], v[34:35], v[60:61], -v[87:88]
	v_fma_f64 v[40:41], v[40:41], v[56:57], v[58:59]
	v_fma_f64 v[46:47], v[46:47], v[60:61], v[62:63]
	;; [unrolled: 1-line block ×4, first 2 shown]
	v_fma_f64 v[22:23], v[22:23], v[64:65], -v[66:67]
	v_fma_f64 v[52:53], v[52:53], v[72:73], -v[74:75]
	;; [unrolled: 1-line block ×4, first 2 shown]
	v_fma_f64 v[42:43], v[42:43], v[83:84], v[85:86]
	v_fma_f64 v[44:45], v[44:45], v[79:80], v[81:82]
	v_add_f64 v[60:61], v[28:29], v[34:35]
	v_add_f64 v[28:29], v[28:29], -v[34:35]
	v_add_f64 v[56:57], v[40:41], v[46:47]
	v_add_f64 v[40:41], v[40:41], -v[46:47]
	;; [unrolled: 2-line block ×4, first 2 shown]
	v_add_f64 v[64:65], v[32:33], -v[30:31]
	v_add_f64 v[30:31], v[32:33], v[30:31]
	v_add_f64 v[34:35], v[44:45], v[42:43]
	v_add_f64 v[32:33], v[44:45], -v[42:43]
	v_add_f64 v[42:43], v[56:57], v[58:59]
	v_add_f64 v[44:45], v[60:61], v[62:63]
	v_add_f64 v[72:73], v[28:29], -v[22:23]
	v_add_f64 v[46:47], v[64:65], -v[28:29]
	;; [unrolled: 1-line block ×7, first 2 shown]
	v_add_f64 v[28:29], v[64:65], v[28:29]
	v_add_f64 v[64:65], v[22:23], -v[64:65]
	v_add_f64 v[79:80], v[38:39], -v[32:33]
	;; [unrolled: 1-line block ×4, first 2 shown]
	v_add_f64 v[34:35], v[34:35], v[42:43]
	v_add_f64 v[42:43], v[30:31], v[44:45]
	v_add_f64 v[44:45], v[40:41], -v[38:39]
	v_add_f64 v[40:41], v[32:33], v[40:41]
	v_mul_f64 v[46:47], v[46:47], s[6:7]
	v_mul_f64 v[52:53], v[52:53], s[22:23]
	;; [unrolled: 1-line block ×6, first 2 shown]
	v_add_f64 v[22:23], v[28:29], v[22:23]
	v_add_f64 v[32:33], v[36:37], v[34:35]
	;; [unrolled: 1-line block ×3, first 2 shown]
	v_mul_f64 v[20:21], v[74:75], s[12:13]
	v_mul_f64 v[36:37], v[44:45], s[10:11]
	v_add_f64 v[28:29], v[40:41], v[38:39]
	v_fma_f64 v[38:39], v[64:65], s[4:5], v[46:47]
	v_fma_f64 v[40:41], v[74:75], s[12:13], v[52:53]
	;; [unrolled: 1-line block ×4, first 2 shown]
	v_fma_f64 v[64:65], v[64:65], s[18:19], -v[81:82]
	v_fma_f64 v[46:47], v[72:73], s[10:11], -v[46:47]
	;; [unrolled: 1-line block ×5, first 2 shown]
	v_add_co_u32 v76, vcc_lo, s2, v70
	v_add_co_ci_u32_e32 v77, vcc_lo, s3, v71, vcc_lo
	v_fma_f64 v[34:35], v[34:35], s[14:15], v[32:33]
	v_fma_f64 v[42:43], v[42:43], s[14:15], v[30:31]
	v_fma_f64 v[20:21], v[56:57], s[20:21], -v[20:21]
	v_fma_f64 v[36:37], v[79:80], s[18:19], -v[36:37]
	;; [unrolled: 1-line block ×3, first 2 shown]
	v_fma_f64 v[38:39], v[22:23], s[24:25], v[38:39]
	v_fma_f64 v[60:61], v[28:29], s[24:25], v[74:75]
	;; [unrolled: 1-line block ×5, first 2 shown]
	v_add_f64 v[64:65], v[40:41], v[34:35]
	v_add_f64 v[52:53], v[52:53], v[34:35]
	;; [unrolled: 1-line block ×4, first 2 shown]
	v_fma_f64 v[70:71], v[28:29], s[24:25], v[36:37]
	v_add_f64 v[74:75], v[54:55], v[42:43]
	v_add_f64 v[42:43], v[56:57], v[42:43]
	v_lshlrev_b64 v[20:21], 4, v[68:69]
	v_add_co_u32 v20, vcc_lo, v76, v20
	v_add_co_ci_u32_e32 v21, vcc_lo, v77, v21, vcc_lo
	v_add_co_u32 v22, vcc_lo, 0x800, v20
	v_add_co_ci_u32_e32 v23, vcc_lo, 0, v21, vcc_lo
	v_add_f64 v[36:37], v[38:39], v[64:65]
	v_add_f64 v[40:41], v[58:59], v[52:53]
	v_add_f64 v[34:35], v[66:67], -v[60:61]
	v_add_f64 v[44:45], v[62:63], -v[46:47]
	v_add_f64 v[54:55], v[46:47], v[62:63]
	v_add_f64 v[62:63], v[64:65], -v[38:39]
	v_add_f64 v[60:61], v[60:61], v[66:67]
	;; [unrolled: 2-line block ×4, first 2 shown]
	v_add_f64 v[38:39], v[74:75], -v[70:71]
	v_add_co_u32 v28, vcc_lo, 0x1800, v20
	v_add_co_ci_u32_e32 v29, vcc_lo, 0, v21, vcc_lo
	v_add_co_u32 v46, vcc_lo, 0x2800, v20
	v_add_co_ci_u32_e32 v47, vcc_lo, 0, v21, vcc_lo
	;; [unrolled: 2-line block ×5, first 2 shown]
	global_store_dwordx4 v[20:21], v[30:33], off
	global_store_dwordx4 v[22:23], v[60:63], off offset:1824
	global_store_dwordx4 v[28:29], v[56:59], off offset:1600
	;; [unrolled: 1-line block ×6, first 2 shown]
	s_and_b32 exec_lo, exec_lo, s0
	s_cbranch_execz .LBB0_26
; %bb.25:
	v_add_nc_u32_e32 v30, 0xffffffa8, v68
	v_cndmask_b32_e64 v30, v30, v78, s0
	v_mul_i32_i24_e32 v68, 6, v30
	v_lshlrev_b64 v[30:31], 4, v[68:69]
	v_add_co_u32 v30, vcc_lo, s8, v30
	v_add_co_ci_u32_e32 v31, vcc_lo, s9, v31, vcc_lo
	v_add_co_u32 v46, vcc_lo, 0xe70, v30
	v_add_co_ci_u32_e32 v47, vcc_lo, 0, v31, vcc_lo
	;; [unrolled: 2-line block ×4, first 2 shown]
	s_clause 0x5
	global_load_dwordx4 v[30:33], v[42:43], off offset:1648
	global_load_dwordx4 v[34:37], v[46:47], off offset:16
	;; [unrolled: 1-line block ×6, first 2 shown]
	s_waitcnt vmcnt(5)
	v_mul_f64 v[46:47], v[18:19], v[32:33]
	v_mul_f64 v[32:33], v[10:11], v[32:33]
	s_waitcnt vmcnt(4)
	v_mul_f64 v[60:61], v[24:25], v[36:37]
	v_mul_f64 v[36:37], v[12:13], v[36:37]
	;; [unrolled: 3-line block ×6, first 2 shown]
	v_fma_f64 v[10:11], v[10:11], v[30:31], -v[46:47]
	v_fma_f64 v[18:19], v[18:19], v[30:31], v[32:33]
	v_fma_f64 v[12:13], v[12:13], v[34:35], -v[60:61]
	v_fma_f64 v[24:25], v[24:25], v[34:35], v[36:37]
	;; [unrolled: 2-line block ×6, first 2 shown]
	v_add_f64 v[34:35], v[10:11], v[30:31]
	v_add_f64 v[36:37], v[18:19], v[32:33]
	;; [unrolled: 1-line block ×4, first 2 shown]
	v_add_f64 v[2:3], v[12:13], -v[2:3]
	v_add_f64 v[6:7], v[24:25], -v[6:7]
	v_add_f64 v[12:13], v[14:15], v[0:1]
	v_add_f64 v[24:25], v[26:27], v[4:5]
	v_add_f64 v[0:1], v[0:1], -v[14:15]
	v_add_f64 v[4:5], v[4:5], -v[26:27]
	v_add_f64 v[10:11], v[10:11], -v[30:31]
	v_add_f64 v[14:15], v[18:19], -v[32:33]
	v_add_f64 v[18:19], v[38:39], v[34:35]
	v_add_f64 v[26:27], v[40:41], v[36:37]
	v_add_f64 v[30:31], v[34:35], -v[12:13]
	v_add_f64 v[32:33], v[36:37], -v[24:25]
	;; [unrolled: 1-line block ×6, first 2 shown]
	v_add_f64 v[50:51], v[0:1], v[2:3]
	v_add_f64 v[6:7], v[4:5], v[6:7]
	v_add_f64 v[52:53], v[10:11], -v[0:1]
	v_add_f64 v[4:5], v[14:15], -v[4:5]
	v_add_f64 v[18:19], v[12:13], v[18:19]
	v_add_f64 v[26:27], v[24:25], v[26:27]
	v_add_f64 v[12:13], v[12:13], -v[38:39]
	v_add_f64 v[24:25], v[24:25], -v[40:41]
	v_mul_f64 v[30:31], v[30:31], s[22:23]
	v_mul_f64 v[32:33], v[32:33], s[22:23]
	;; [unrolled: 1-line block ×6, first 2 shown]
	v_add_f64 v[10:11], v[50:51], v[10:11]
	v_add_f64 v[6:7], v[6:7], v[14:15]
	;; [unrolled: 1-line block ×4, first 2 shown]
	v_add_f64 v[8:9], v[38:39], -v[34:35]
	v_add_f64 v[16:17], v[40:41], -v[36:37]
	v_mul_f64 v[34:35], v[12:13], s[12:13]
	v_mul_f64 v[36:37], v[24:25], s[12:13]
	v_fma_f64 v[12:13], v[12:13], s[12:13], v[30:31]
	v_fma_f64 v[14:15], v[24:25], s[12:13], v[32:33]
	;; [unrolled: 1-line block ×4, first 2 shown]
	v_fma_f64 v[40:41], v[46:47], s[10:11], -v[42:43]
	v_fma_f64 v[42:43], v[48:49], s[10:11], -v[44:45]
	;; [unrolled: 1-line block ×4, first 2 shown]
	v_add_co_u32 v48, vcc_lo, 0x2000, v20
	v_add_co_ci_u32_e32 v49, vcc_lo, 0, v21, vcc_lo
	v_fma_f64 v[18:19], v[18:19], s[14:15], v[0:1]
	v_fma_f64 v[26:27], v[26:27], s[14:15], v[2:3]
	v_fma_f64 v[30:31], v[8:9], s[16:17], -v[30:31]
	v_fma_f64 v[32:33], v[16:17], s[16:17], -v[32:33]
	v_fma_f64 v[8:9], v[8:9], s[20:21], -v[34:35]
	v_fma_f64 v[16:17], v[16:17], s[20:21], -v[36:37]
	v_fma_f64 v[34:35], v[10:11], s[24:25], v[24:25]
	v_fma_f64 v[36:37], v[6:7], s[24:25], v[38:39]
	;; [unrolled: 1-line block ×6, first 2 shown]
	v_add_f64 v[44:45], v[12:13], v[18:19]
	v_add_f64 v[46:47], v[14:15], v[26:27]
	;; [unrolled: 1-line block ×7, first 2 shown]
	v_add_f64 v[6:7], v[46:47], -v[34:35]
	v_add_f64 v[8:9], v[42:43], v[30:31]
	v_add_f64 v[10:11], v[32:33], -v[40:41]
	v_add_f64 v[12:13], v[18:19], -v[38:39]
	v_add_f64 v[14:15], v[24:25], v[26:27]
	v_add_f64 v[16:17], v[38:39], v[18:19]
	v_add_f64 v[18:19], v[26:27], -v[24:25]
	v_add_f64 v[24:25], v[30:31], -v[42:43]
	v_add_f64 v[26:27], v[40:41], v[32:33]
	v_add_f64 v[30:31], v[44:45], -v[36:37]
	v_add_f64 v[32:33], v[34:35], v[46:47]
	v_add_co_u32 v34, vcc_lo, 0x3000, v20
	v_add_co_ci_u32_e32 v35, vcc_lo, 0, v21, vcc_lo
	v_add_co_u32 v36, vcc_lo, 0x4000, v20
	v_add_co_ci_u32_e32 v37, vcc_lo, 0, v21, vcc_lo
	;; [unrolled: 2-line block ×4, first 2 shown]
	global_store_dwordx4 v[22:23], v[0:3], off offset:416
	global_store_dwordx4 v[28:29], v[4:7], off offset:192
	;; [unrolled: 1-line block ×7, first 2 shown]
.LBB0_26:
	s_endpgm
	.section	.rodata,"a",@progbits
	.p2align	6, 0x0
	.amdhsa_kernel fft_rtc_fwd_len1694_factors_11_2_11_7_wgs_154_tpt_154_halfLds_dp_ip_CI_unitstride_sbrr_dirReg
		.amdhsa_group_segment_fixed_size 0
		.amdhsa_private_segment_fixed_size 0
		.amdhsa_kernarg_size 88
		.amdhsa_user_sgpr_count 6
		.amdhsa_user_sgpr_private_segment_buffer 1
		.amdhsa_user_sgpr_dispatch_ptr 0
		.amdhsa_user_sgpr_queue_ptr 0
		.amdhsa_user_sgpr_kernarg_segment_ptr 1
		.amdhsa_user_sgpr_dispatch_id 0
		.amdhsa_user_sgpr_flat_scratch_init 0
		.amdhsa_user_sgpr_private_segment_size 0
		.amdhsa_wavefront_size32 1
		.amdhsa_uses_dynamic_stack 0
		.amdhsa_system_sgpr_private_segment_wavefront_offset 0
		.amdhsa_system_sgpr_workgroup_id_x 1
		.amdhsa_system_sgpr_workgroup_id_y 0
		.amdhsa_system_sgpr_workgroup_id_z 0
		.amdhsa_system_sgpr_workgroup_info 0
		.amdhsa_system_vgpr_workitem_id 0
		.amdhsa_next_free_vgpr 141
		.amdhsa_next_free_sgpr 36
		.amdhsa_reserve_vcc 1
		.amdhsa_reserve_flat_scratch 0
		.amdhsa_float_round_mode_32 0
		.amdhsa_float_round_mode_16_64 0
		.amdhsa_float_denorm_mode_32 3
		.amdhsa_float_denorm_mode_16_64 3
		.amdhsa_dx10_clamp 1
		.amdhsa_ieee_mode 1
		.amdhsa_fp16_overflow 0
		.amdhsa_workgroup_processor_mode 1
		.amdhsa_memory_ordered 1
		.amdhsa_forward_progress 0
		.amdhsa_shared_vgpr_count 0
		.amdhsa_exception_fp_ieee_invalid_op 0
		.amdhsa_exception_fp_denorm_src 0
		.amdhsa_exception_fp_ieee_div_zero 0
		.amdhsa_exception_fp_ieee_overflow 0
		.amdhsa_exception_fp_ieee_underflow 0
		.amdhsa_exception_fp_ieee_inexact 0
		.amdhsa_exception_int_div_zero 0
	.end_amdhsa_kernel
	.text
.Lfunc_end0:
	.size	fft_rtc_fwd_len1694_factors_11_2_11_7_wgs_154_tpt_154_halfLds_dp_ip_CI_unitstride_sbrr_dirReg, .Lfunc_end0-fft_rtc_fwd_len1694_factors_11_2_11_7_wgs_154_tpt_154_halfLds_dp_ip_CI_unitstride_sbrr_dirReg
                                        ; -- End function
	.section	.AMDGPU.csdata,"",@progbits
; Kernel info:
; codeLenInByte = 11568
; NumSgprs: 38
; NumVgprs: 141
; ScratchSize: 0
; MemoryBound: 1
; FloatMode: 240
; IeeeMode: 1
; LDSByteSize: 0 bytes/workgroup (compile time only)
; SGPRBlocks: 4
; VGPRBlocks: 17
; NumSGPRsForWavesPerEU: 38
; NumVGPRsForWavesPerEU: 141
; Occupancy: 7
; WaveLimiterHint : 1
; COMPUTE_PGM_RSRC2:SCRATCH_EN: 0
; COMPUTE_PGM_RSRC2:USER_SGPR: 6
; COMPUTE_PGM_RSRC2:TRAP_HANDLER: 0
; COMPUTE_PGM_RSRC2:TGID_X_EN: 1
; COMPUTE_PGM_RSRC2:TGID_Y_EN: 0
; COMPUTE_PGM_RSRC2:TGID_Z_EN: 0
; COMPUTE_PGM_RSRC2:TIDIG_COMP_CNT: 0
	.text
	.p2alignl 6, 3214868480
	.fill 48, 4, 3214868480
	.type	__hip_cuid_235bc6b016baca92,@object ; @__hip_cuid_235bc6b016baca92
	.section	.bss,"aw",@nobits
	.globl	__hip_cuid_235bc6b016baca92
__hip_cuid_235bc6b016baca92:
	.byte	0                               ; 0x0
	.size	__hip_cuid_235bc6b016baca92, 1

	.ident	"AMD clang version 19.0.0git (https://github.com/RadeonOpenCompute/llvm-project roc-6.4.0 25133 c7fe45cf4b819c5991fe208aaa96edf142730f1d)"
	.section	".note.GNU-stack","",@progbits
	.addrsig
	.addrsig_sym __hip_cuid_235bc6b016baca92
	.amdgpu_metadata
---
amdhsa.kernels:
  - .args:
      - .actual_access:  read_only
        .address_space:  global
        .offset:         0
        .size:           8
        .value_kind:     global_buffer
      - .offset:         8
        .size:           8
        .value_kind:     by_value
      - .actual_access:  read_only
        .address_space:  global
        .offset:         16
        .size:           8
        .value_kind:     global_buffer
      - .actual_access:  read_only
        .address_space:  global
        .offset:         24
        .size:           8
        .value_kind:     global_buffer
      - .offset:         32
        .size:           8
        .value_kind:     by_value
      - .actual_access:  read_only
        .address_space:  global
        .offset:         40
        .size:           8
        .value_kind:     global_buffer
      - .actual_access:  read_only
        .address_space:  global
        .offset:         48
        .size:           8
        .value_kind:     global_buffer
      - .offset:         56
        .size:           4
        .value_kind:     by_value
      - .actual_access:  read_only
        .address_space:  global
        .offset:         64
        .size:           8
        .value_kind:     global_buffer
      - .actual_access:  read_only
        .address_space:  global
        .offset:         72
        .size:           8
        .value_kind:     global_buffer
      - .address_space:  global
        .offset:         80
        .size:           8
        .value_kind:     global_buffer
    .group_segment_fixed_size: 0
    .kernarg_segment_align: 8
    .kernarg_segment_size: 88
    .language:       OpenCL C
    .language_version:
      - 2
      - 0
    .max_flat_workgroup_size: 154
    .name:           fft_rtc_fwd_len1694_factors_11_2_11_7_wgs_154_tpt_154_halfLds_dp_ip_CI_unitstride_sbrr_dirReg
    .private_segment_fixed_size: 0
    .sgpr_count:     38
    .sgpr_spill_count: 0
    .symbol:         fft_rtc_fwd_len1694_factors_11_2_11_7_wgs_154_tpt_154_halfLds_dp_ip_CI_unitstride_sbrr_dirReg.kd
    .uniform_work_group_size: 1
    .uses_dynamic_stack: false
    .vgpr_count:     141
    .vgpr_spill_count: 0
    .wavefront_size: 32
    .workgroup_processor_mode: 1
amdhsa.target:   amdgcn-amd-amdhsa--gfx1030
amdhsa.version:
  - 1
  - 2
...

	.end_amdgpu_metadata
